;; amdgpu-corpus repo=ROCm/rocFFT kind=compiled arch=gfx950 opt=O3
	.text
	.amdgcn_target "amdgcn-amd-amdhsa--gfx950"
	.amdhsa_code_object_version 6
	.protected	fft_rtc_back_len22_factors_11_2_wgs_64_tpt_2_halfLds_dp_ip_CI_unitstride_sbrr_R2C_dirReg ; -- Begin function fft_rtc_back_len22_factors_11_2_wgs_64_tpt_2_halfLds_dp_ip_CI_unitstride_sbrr_R2C_dirReg
	.globl	fft_rtc_back_len22_factors_11_2_wgs_64_tpt_2_halfLds_dp_ip_CI_unitstride_sbrr_R2C_dirReg
	.p2align	8
	.type	fft_rtc_back_len22_factors_11_2_wgs_64_tpt_2_halfLds_dp_ip_CI_unitstride_sbrr_R2C_dirReg,@function
fft_rtc_back_len22_factors_11_2_wgs_64_tpt_2_halfLds_dp_ip_CI_unitstride_sbrr_R2C_dirReg: ; @fft_rtc_back_len22_factors_11_2_wgs_64_tpt_2_halfLds_dp_ip_CI_unitstride_sbrr_R2C_dirReg
; %bb.0:
	s_load_dwordx2 s[8:9], s[0:1], 0x50
	s_load_dwordx4 s[4:7], s[0:1], 0x0
	s_load_dwordx2 s[10:11], s[0:1], 0x18
	v_lshrrev_b32_e32 v1, 1, v0
	v_lshl_or_b32 v6, s2, 5, v1
	v_mov_b32_e32 v4, 0
	s_waitcnt lgkmcnt(0)
	v_cmp_lt_u64_e64 s[2:3], s[6:7], 2
	v_mov_b32_e32 v7, v4
	s_and_b64 vcc, exec, s[2:3]
	v_mov_b64_e32 v[2:3], 0
	s_cbranch_vccnz .LBB0_8
; %bb.1:
	s_load_dwordx2 s[2:3], s[0:1], 0x10
	s_add_u32 s12, s10, 8
	s_addc_u32 s13, s11, 0
	s_mov_b64 s[14:15], 1
	v_mov_b64_e32 v[2:3], 0
	s_waitcnt lgkmcnt(0)
	s_add_u32 s16, s2, 8
	s_addc_u32 s17, s3, 0
.LBB0_2:                                ; =>This Inner Loop Header: Depth=1
	s_load_dwordx2 s[18:19], s[16:17], 0x0
                                        ; implicit-def: $vgpr8_vgpr9
	s_waitcnt lgkmcnt(0)
	v_or_b32_e32 v5, s19, v7
	v_cmp_ne_u64_e32 vcc, 0, v[4:5]
	s_and_saveexec_b64 s[2:3], vcc
	s_xor_b64 s[20:21], exec, s[2:3]
	s_cbranch_execz .LBB0_4
; %bb.3:                                ;   in Loop: Header=BB0_2 Depth=1
	v_cvt_f32_u32_e32 v5, s18
	v_cvt_f32_u32_e32 v8, s19
	s_sub_u32 s2, 0, s18
	s_subb_u32 s3, 0, s19
	v_fmac_f32_e32 v5, 0x4f800000, v8
	v_rcp_f32_e32 v5, v5
	s_nop 0
	v_mul_f32_e32 v5, 0x5f7ffffc, v5
	v_mul_f32_e32 v8, 0x2f800000, v5
	v_trunc_f32_e32 v8, v8
	v_fmac_f32_e32 v5, 0xcf800000, v8
	v_cvt_u32_f32_e32 v12, v8
	v_cvt_u32_f32_e32 v5, v5
	v_mul_lo_u32 v8, s2, v12
	v_mul_hi_u32 v10, s2, v5
	v_mul_lo_u32 v9, s3, v5
	v_add_u32_e32 v10, v10, v8
	v_mul_lo_u32 v13, s2, v5
	v_add_u32_e32 v14, v10, v9
	v_mul_hi_u32 v8, v5, v13
	v_mul_hi_u32 v11, v5, v14
	v_mul_lo_u32 v10, v5, v14
	v_mov_b32_e32 v9, v4
	v_lshl_add_u64 v[8:9], v[8:9], 0, v[10:11]
	v_mul_hi_u32 v11, v12, v13
	v_mul_lo_u32 v13, v12, v13
	v_add_co_u32_e32 v8, vcc, v8, v13
	v_mul_hi_u32 v10, v12, v14
	s_nop 0
	v_addc_co_u32_e32 v8, vcc, v9, v11, vcc
	v_mov_b32_e32 v9, v4
	s_nop 0
	v_addc_co_u32_e32 v11, vcc, 0, v10, vcc
	v_mul_lo_u32 v10, v12, v14
	v_lshl_add_u64 v[8:9], v[8:9], 0, v[10:11]
	v_add_co_u32_e32 v5, vcc, v5, v8
	v_mul_lo_u32 v10, s2, v5
	s_nop 0
	v_addc_co_u32_e32 v12, vcc, v12, v9, vcc
	v_mul_lo_u32 v8, s2, v12
	v_mul_hi_u32 v9, s2, v5
	v_add_u32_e32 v8, v9, v8
	v_mul_lo_u32 v9, s3, v5
	v_add_u32_e32 v13, v8, v9
	v_mul_hi_u32 v15, v12, v10
	v_mul_lo_u32 v16, v12, v10
	v_mul_hi_u32 v9, v5, v13
	v_mul_lo_u32 v8, v5, v13
	v_mul_hi_u32 v10, v5, v10
	v_mov_b32_e32 v11, v4
	v_lshl_add_u64 v[8:9], v[10:11], 0, v[8:9]
	v_add_co_u32_e32 v8, vcc, v8, v16
	v_mul_hi_u32 v14, v12, v13
	s_nop 0
	v_addc_co_u32_e32 v8, vcc, v9, v15, vcc
	v_mul_lo_u32 v10, v12, v13
	s_nop 0
	v_addc_co_u32_e32 v11, vcc, 0, v14, vcc
	v_mov_b32_e32 v9, v4
	v_lshl_add_u64 v[8:9], v[8:9], 0, v[10:11]
	v_add_co_u32_e32 v5, vcc, v5, v8
	v_mul_hi_u32 v10, v6, v5
	s_nop 0
	v_addc_co_u32_e32 v12, vcc, v12, v9, vcc
	v_mad_u64_u32 v[8:9], s[2:3], v6, v12, 0
	v_mov_b32_e32 v11, v4
	v_lshl_add_u64 v[8:9], v[10:11], 0, v[8:9]
	v_mad_u64_u32 v[10:11], s[2:3], v7, v12, 0
	v_mad_u64_u32 v[12:13], s[2:3], v7, v5, 0
	v_add_co_u32_e32 v5, vcc, v8, v12
	s_nop 1
	v_addc_co_u32_e32 v8, vcc, v9, v13, vcc
	v_mov_b32_e32 v9, v4
	s_nop 0
	v_addc_co_u32_e32 v11, vcc, 0, v11, vcc
	v_lshl_add_u64 v[8:9], v[8:9], 0, v[10:11]
	v_mul_lo_u32 v5, s19, v8
	v_mul_lo_u32 v12, s18, v9
	v_mad_u64_u32 v[10:11], s[2:3], s18, v8, 0
	v_add3_u32 v5, v11, v12, v5
	v_sub_u32_e32 v11, v7, v5
	v_mov_b32_e32 v12, s19
	v_sub_co_u32_e32 v14, vcc, v6, v10
	s_nop 1
	v_subb_co_u32_e64 v10, s[2:3], v11, v12, vcc
	v_subrev_co_u32_e64 v11, s[2:3], s18, v14
	v_subb_co_u32_e32 v5, vcc, v7, v5, vcc
	s_nop 0
	v_subbrev_co_u32_e64 v10, s[2:3], 0, v10, s[2:3]
	v_cmp_le_u32_e64 s[2:3], s19, v10
	v_cmp_le_u32_e32 vcc, s19, v5
	s_nop 0
	v_cndmask_b32_e64 v12, 0, -1, s[2:3]
	v_cmp_le_u32_e64 s[2:3], s18, v11
	s_nop 1
	v_cndmask_b32_e64 v11, 0, -1, s[2:3]
	v_cmp_eq_u32_e64 s[2:3], s19, v10
	s_nop 1
	v_cndmask_b32_e64 v15, v12, v11, s[2:3]
	v_lshl_add_u64 v[10:11], v[8:9], 0, 2
	v_lshl_add_u64 v[12:13], v[8:9], 0, 1
	v_cmp_ne_u32_e64 s[2:3], 0, v15
	s_nop 1
	v_cndmask_b32_e64 v11, v13, v11, s[2:3]
	v_cndmask_b32_e64 v13, 0, -1, vcc
	v_cmp_le_u32_e32 vcc, s18, v14
	s_nop 1
	v_cndmask_b32_e64 v14, 0, -1, vcc
	v_cmp_eq_u32_e32 vcc, s19, v5
	s_nop 1
	v_cndmask_b32_e32 v5, v13, v14, vcc
	v_cmp_ne_u32_e32 vcc, 0, v5
	v_cndmask_b32_e64 v5, v12, v10, s[2:3]
	s_nop 0
	v_cndmask_b32_e32 v9, v9, v11, vcc
	v_cndmask_b32_e32 v8, v8, v5, vcc
.LBB0_4:                                ;   in Loop: Header=BB0_2 Depth=1
	s_andn2_saveexec_b64 s[2:3], s[20:21]
	s_cbranch_execz .LBB0_6
; %bb.5:                                ;   in Loop: Header=BB0_2 Depth=1
	v_cvt_f32_u32_e32 v5, s18
	s_sub_i32 s20, 0, s18
	v_rcp_iflag_f32_e32 v5, v5
	s_nop 0
	v_mul_f32_e32 v5, 0x4f7ffffe, v5
	v_cvt_u32_f32_e32 v5, v5
	v_mul_lo_u32 v8, s20, v5
	v_mul_hi_u32 v8, v5, v8
	v_add_u32_e32 v5, v5, v8
	v_mul_hi_u32 v5, v6, v5
	v_mul_lo_u32 v8, v5, s18
	v_sub_u32_e32 v8, v6, v8
	v_add_u32_e32 v9, 1, v5
	v_subrev_u32_e32 v10, s18, v8
	v_cmp_le_u32_e32 vcc, s18, v8
	s_nop 1
	v_cndmask_b32_e32 v8, v8, v10, vcc
	v_cndmask_b32_e32 v5, v5, v9, vcc
	v_add_u32_e32 v9, 1, v5
	v_cmp_le_u32_e32 vcc, s18, v8
	s_nop 1
	v_cndmask_b32_e32 v8, v5, v9, vcc
	v_mov_b32_e32 v9, v4
.LBB0_6:                                ;   in Loop: Header=BB0_2 Depth=1
	s_or_b64 exec, exec, s[2:3]
	v_mad_u64_u32 v[10:11], s[2:3], v8, s18, 0
	s_load_dwordx2 s[2:3], s[12:13], 0x0
	v_mul_lo_u32 v5, v9, s18
	v_mul_lo_u32 v12, v8, s19
	v_add3_u32 v5, v11, v12, v5
	v_sub_co_u32_e32 v6, vcc, v6, v10
	s_add_u32 s14, s14, 1
	s_nop 0
	v_subb_co_u32_e32 v5, vcc, v7, v5, vcc
	s_addc_u32 s15, s15, 0
	s_waitcnt lgkmcnt(0)
	v_mul_lo_u32 v5, s2, v5
	v_mul_lo_u32 v7, s3, v6
	v_mad_u64_u32 v[2:3], s[2:3], s2, v6, v[2:3]
	s_add_u32 s12, s12, 8
	v_add3_u32 v3, v7, v3, v5
	s_addc_u32 s13, s13, 0
	v_mov_b64_e32 v[6:7], s[6:7]
	s_add_u32 s16, s16, 8
	v_cmp_ge_u64_e32 vcc, s[14:15], v[6:7]
	s_addc_u32 s17, s17, 0
	s_cbranch_vccnz .LBB0_9
; %bb.7:                                ;   in Loop: Header=BB0_2 Depth=1
	v_mov_b64_e32 v[6:7], v[8:9]
	s_branch .LBB0_2
.LBB0_8:
	v_mov_b64_e32 v[8:9], v[6:7]
.LBB0_9:
	s_lshl_b64 s[2:3], s[6:7], 3
	s_add_u32 s2, s10, s2
	s_addc_u32 s3, s11, s3
	s_load_dwordx2 s[6:7], s[2:3], 0x0
	s_load_dwordx2 s[10:11], s[0:1], 0x20
	v_and_b32_e32 v53, 1, v0
	v_or_b32_e32 v52, 2, v53
	v_or_b32_e32 v58, 4, v53
	s_waitcnt lgkmcnt(0)
	v_mul_lo_u32 v4, s6, v9
	v_mul_lo_u32 v5, s7, v8
	v_mad_u64_u32 v[2:3], s[0:1], s6, v8, v[2:3]
	v_add3_u32 v3, v5, v3, v4
	v_cmp_gt_u64_e32 vcc, s[10:11], v[8:9]
	v_cmp_le_u64_e64 s[0:1], s[10:11], v[8:9]
	v_or_b32_e32 v56, 6, v53
	v_or_b32_e32 v54, 8, v53
	s_and_saveexec_b64 s[2:3], s[0:1]
	s_xor_b64 s[0:1], exec, s[2:3]
; %bb.10:
	v_or_b32_e32 v52, 2, v53
	v_or_b32_e32 v58, 4, v53
	;; [unrolled: 1-line block ×4, first 2 shown]
; %bb.11:
	s_or_saveexec_b64 s[0:1], s[0:1]
	v_mul_u32_u24_e32 v0, 23, v1
	v_lshl_add_u64 v[48:49], v[2:3], 4, s[8:9]
	v_lshlrev_b32_e32 v50, 4, v53
	v_lshlrev_b32_e32 v0, 4, v0
	s_xor_b64 exec, exec, s[0:1]
	s_cbranch_execz .LBB0_13
; %bb.12:
	v_mov_b32_e32 v51, 0
	v_lshl_add_u64 v[46:47], v[48:49], 0, v[50:51]
	global_load_dwordx4 v[2:5], v[46:47], off
	global_load_dwordx4 v[6:9], v[46:47], off offset:32
	global_load_dwordx4 v[10:13], v[46:47], off offset:64
	global_load_dwordx4 v[14:17], v[46:47], off offset:96
	global_load_dwordx4 v[18:21], v[46:47], off offset:128
	global_load_dwordx4 v[22:25], v[46:47], off offset:160
	global_load_dwordx4 v[26:29], v[46:47], off offset:192
	global_load_dwordx4 v[30:33], v[46:47], off offset:224
	global_load_dwordx4 v[34:37], v[46:47], off offset:256
	global_load_dwordx4 v[38:41], v[46:47], off offset:288
	global_load_dwordx4 v[42:45], v[46:47], off offset:320
	v_add3_u32 v1, 0, v0, v50
	s_waitcnt vmcnt(10)
	ds_write_b128 v1, v[2:5]
	s_waitcnt vmcnt(9)
	ds_write_b128 v1, v[6:9] offset:32
	s_waitcnt vmcnt(8)
	ds_write_b128 v1, v[10:13] offset:64
	;; [unrolled: 2-line block ×10, first 2 shown]
.LBB0_13:
	s_or_b64 exec, exec, s[0:1]
	v_add_u32_e32 v65, 0, v0
	v_add_u32_e32 v64, v65, v50
	s_waitcnt lgkmcnt(0)
	; wave barrier
	s_waitcnt lgkmcnt(0)
	v_add3_u32 v51, 0, v50, v0
	ds_read_b128 v[0:3], v64
	ds_read_b128 v[28:31], v51 offset:32
	ds_read_b128 v[34:37], v51 offset:64
	;; [unrolled: 1-line block ×9, first 2 shown]
	s_waitcnt lgkmcnt(8)
	v_add_f64 v[4:5], v[0:1], v[28:29]
	v_add_f64 v[6:7], v[2:3], v[30:31]
	s_waitcnt lgkmcnt(7)
	v_add_f64 v[4:5], v[4:5], v[34:35]
	v_add_f64 v[6:7], v[6:7], v[36:37]
	;; [unrolled: 3-line block ×3, first 2 shown]
	s_waitcnt lgkmcnt(5)
	v_add_f64 v[4:5], v[4:5], v[16:17]
	ds_read_b128 v[70:73], v51 offset:320
	v_add_f64 v[6:7], v[6:7], v[18:19]
	s_waitcnt lgkmcnt(5)
	v_add_f64 v[4:5], v[4:5], v[8:9]
	v_add_f64 v[6:7], v[6:7], v[10:11]
	s_waitcnt lgkmcnt(4)
	v_add_f64 v[4:5], v[4:5], v[12:13]
	;; [unrolled: 3-line block ×4, first 2 shown]
	s_mov_b32 s20, 0xf8bb580b
	s_mov_b32 s14, 0x8eee2c13
	;; [unrolled: 1-line block ×5, first 2 shown]
	v_add_f64 v[6:7], v[6:7], v[68:69]
	s_waitcnt lgkmcnt(1)
	v_add_f64 v[4:5], v[4:5], v[38:39]
	s_waitcnt lgkmcnt(0)
	v_add_f64 v[62:63], v[30:31], -v[72:73]
	s_mov_b32 s21, 0xbfe14ced
	s_mov_b32 s8, 0x8764f0ba
	;; [unrolled: 1-line block ×10, first 2 shown]
	v_add_f64 v[6:7], v[6:7], v[40:41]
	v_add_f64 v[4:5], v[4:5], v[70:71]
	;; [unrolled: 1-line block ×4, first 2 shown]
	v_add_f64 v[42:43], v[28:29], -v[70:71]
	v_add_f64 v[28:29], v[34:35], v[38:39]
	v_add_f64 v[32:33], v[36:37], v[40:41]
	v_add_f64 v[30:31], v[34:35], -v[38:39]
	v_add_f64 v[34:35], v[36:37], -v[40:41]
	v_add_f64 v[36:37], v[24:25], v[66:67]
	v_add_f64 v[24:25], v[24:25], -v[66:67]
	v_add_f64 v[40:41], v[16:17], v[20:21]
	;; [unrolled: 2-line block ×3, first 2 shown]
	v_add_f64 v[8:9], v[8:9], -v[12:13]
	s_mov_b32 s9, 0x3feaeb8c
	v_mul_f64 v[12:13], v[62:63], s[20:21]
	s_mov_b32 s7, 0x3fda9628
	v_mul_f64 v[66:67], v[62:63], s[14:15]
	;; [unrolled: 2-line block ×4, first 2 shown]
	v_mul_f64 v[62:63], v[62:63], s[26:27]
	s_mov_b32 s29, 0xbfeeb42a
	v_add_f64 v[6:7], v[6:7], v[72:73]
	v_add_f64 v[38:39], v[26:27], v[68:69]
	v_add_f64 v[26:27], v[26:27], -v[68:69]
	v_add_f64 v[46:47], v[18:19], v[22:23]
	v_add_f64 v[18:19], v[18:19], -v[22:23]
	;; [unrolled: 2-line block ×3, first 2 shown]
	v_fma_f64 v[14:15], s[8:9], v[60:61], v[12:13]
	v_fma_f64 v[12:13], v[60:61], s[8:9], -v[12:13]
	v_fma_f64 v[68:69], s[6:7], v[60:61], v[66:67]
	v_fma_f64 v[66:67], v[60:61], s[6:7], -v[66:67]
	;; [unrolled: 2-line block ×5, first 2 shown]
	v_mul_f64 v[62:63], v[44:45], s[8:9]
	v_mul_f64 v[82:83], v[44:45], s[6:7]
	;; [unrolled: 1-line block ×5, first 2 shown]
	s_mov_b32 s31, 0x3fd207e7
	s_mov_b32 s30, s26
	;; [unrolled: 1-line block ×4, first 2 shown]
	v_fma_f64 v[94:95], s[30:31], v[42:43], v[44:45]
	v_fmac_f64_e32 v[44:45], s[26:27], v[42:43]
	v_fma_f64 v[80:81], s[18:19], v[42:43], v[62:63]
	s_mov_b32 s17, 0x3fed1bb4
	s_mov_b32 s16, s14
	;; [unrolled: 1-line block ×6, first 2 shown]
	v_add_f64 v[102:103], v[2:3], v[44:45]
	v_mul_f64 v[44:45], v[32:33], s[6:7]
	v_fmac_f64_e32 v[62:63], s[20:21], v[42:43]
	v_fma_f64 v[84:85], s[16:17], v[42:43], v[82:83]
	v_fmac_f64_e32 v[82:83], s[14:15], v[42:43]
	v_fma_f64 v[88:89], s[22:23], v[42:43], v[86:87]
	;; [unrolled: 2-line block ×3, first 2 shown]
	v_fmac_f64_e32 v[90:91], s[10:11], v[42:43]
	v_add_f64 v[14:15], v[0:1], v[14:15]
	v_add_f64 v[42:43], v[2:3], v[80:81]
	;; [unrolled: 1-line block ×11, first 2 shown]
	v_mul_f64 v[0:1], v[34:35], s[14:15]
	v_fma_f64 v[12:13], s[16:17], v[30:31], v[44:45]
	v_add_f64 v[62:63], v[2:3], v[62:63]
	v_add_f64 v[84:85], v[2:3], v[84:85]
	;; [unrolled: 1-line block ×8, first 2 shown]
	v_fma_f64 v[2:3], s[6:7], v[28:29], v[0:1]
	v_add_f64 v[12:13], v[12:13], v[42:43]
	v_mul_f64 v[42:43], v[26:27], s[0:1]
	v_add_f64 v[2:3], v[2:3], v[14:15]
	v_fma_f64 v[14:15], s[2:3], v[36:37], v[42:43]
	v_mul_f64 v[60:61], v[38:39], s[2:3]
	v_add_f64 v[2:3], v[14:15], v[2:3]
	v_fma_f64 v[14:15], s[22:23], v[24:25], v[60:61]
	;; [unrolled: 3-line block ×4, first 2 shown]
	v_mul_f64 v[104:105], v[10:11], s[26:27]
	v_fma_f64 v[0:1], v[28:29], s[6:7], -v[0:1]
	v_fmac_f64_e32 v[44:45], s[14:15], v[30:31]
	v_add_f64 v[14:15], v[14:15], v[12:13]
	v_fma_f64 v[12:13], s[28:29], v[20:21], v[104:105]
	v_add_f64 v[0:1], v[0:1], v[80:81]
	v_add_f64 v[44:45], v[44:45], v[62:63]
	v_fma_f64 v[42:43], v[36:37], s[2:3], -v[42:43]
	v_fmac_f64_e32 v[60:61], s[0:1], v[24:25]
	v_add_f64 v[12:13], v[12:13], v[2:3]
	v_mul_f64 v[2:3], v[22:23], s[28:29]
	v_add_f64 v[0:1], v[42:43], v[0:1]
	v_add_f64 v[42:43], v[60:61], v[44:45]
	v_fmac_f64_e32 v[78:79], s[10:11], v[16:17]
	v_fma_f64 v[106:107], s[30:31], v[8:9], v[2:3]
	v_add_f64 v[42:43], v[78:79], v[42:43]
	v_fmac_f64_e32 v[2:3], s[26:27], v[8:9]
	v_mul_f64 v[60:61], v[34:35], s[10:11]
	v_add_f64 v[2:3], v[2:3], v[42:43]
	v_fma_f64 v[42:43], s[12:13], v[28:29], v[60:61]
	v_fma_f64 v[44:45], v[40:41], s[12:13], -v[74:75]
	v_add_f64 v[42:43], v[42:43], v[68:69]
	v_mul_f64 v[68:69], v[26:27], s[30:31]
	v_add_f64 v[0:1], v[44:45], v[0:1]
	v_fma_f64 v[44:45], v[20:21], s[28:29], -v[104:105]
	v_mul_f64 v[62:63], v[32:33], s[12:13]
	v_fma_f64 v[74:75], s[28:29], v[36:37], v[68:69]
	v_add_f64 v[0:1], v[44:45], v[0:1]
	v_fma_f64 v[44:45], s[24:25], v[30:31], v[62:63]
	v_add_f64 v[42:43], v[74:75], v[42:43]
	v_mul_f64 v[74:75], v[38:39], s[28:29]
	v_add_f64 v[44:45], v[44:45], v[84:85]
	v_fma_f64 v[78:79], s[26:27], v[24:25], v[74:75]
	v_add_f64 v[44:45], v[78:79], v[44:45]
	v_mul_f64 v[78:79], v[18:19], s[22:23]
	v_fma_f64 v[80:81], s[2:3], v[40:41], v[78:79]
	v_add_f64 v[42:43], v[80:81], v[42:43]
	v_mul_f64 v[80:81], v[46:47], s[2:3]
	v_fma_f64 v[60:61], v[28:29], s[12:13], -v[60:61]
	v_fma_f64 v[84:85], s[0:1], v[16:17], v[80:81]
	v_add_f64 v[60:61], v[60:61], v[66:67]
	v_fmac_f64_e32 v[62:63], s[10:11], v[30:31]
	v_fma_f64 v[66:67], v[36:37], s[28:29], -v[68:69]
	v_add_f64 v[44:45], v[84:85], v[44:45]
	v_mul_f64 v[84:85], v[10:11], s[18:19]
	v_add_f64 v[62:63], v[62:63], v[82:83]
	v_add_f64 v[60:61], v[66:67], v[60:61]
	v_fmac_f64_e32 v[74:75], s[30:31], v[24:25]
	v_fma_f64 v[66:67], v[40:41], s[2:3], -v[78:79]
	v_add_f64 v[62:63], v[74:75], v[62:63]
	v_add_f64 v[60:61], v[66:67], v[60:61]
	v_fma_f64 v[66:67], v[20:21], s[8:9], -v[84:85]
	v_mul_f64 v[74:75], v[34:35], s[30:31]
	v_fmac_f64_e32 v[80:81], s[22:23], v[16:17]
	v_add_f64 v[60:61], v[66:67], v[60:61]
	v_fma_f64 v[66:67], s[28:29], v[28:29], v[74:75]
	v_mul_f64 v[78:79], v[26:27], s[16:17]
	v_add_f64 v[62:63], v[80:81], v[62:63]
	v_add_f64 v[66:67], v[66:67], v[72:73]
	v_mul_f64 v[72:73], v[32:33], s[28:29]
	v_fma_f64 v[80:81], s[6:7], v[36:37], v[78:79]
	v_fma_f64 v[68:69], s[26:27], v[30:31], v[72:73]
	v_add_f64 v[66:67], v[80:81], v[66:67]
	v_mul_f64 v[80:81], v[38:39], s[6:7]
	v_add_f64 v[68:69], v[68:69], v[88:89]
	v_fma_f64 v[82:83], s[14:15], v[24:25], v[80:81]
	v_add_f64 v[68:69], v[82:83], v[68:69]
	v_mul_f64 v[82:83], v[18:19], s[20:21]
	v_fma_f64 v[104:105], s[8:9], v[20:21], v[84:85]
	v_fma_f64 v[84:85], s[8:9], v[40:41], v[82:83]
	v_add_f64 v[66:67], v[84:85], v[66:67]
	v_mul_f64 v[84:85], v[46:47], s[8:9]
	v_fma_f64 v[74:75], v[28:29], s[28:29], -v[74:75]
	v_fma_f64 v[88:89], s[18:19], v[16:17], v[84:85]
	v_add_f64 v[70:71], v[74:75], v[70:71]
	v_fma_f64 v[74:75], v[36:37], s[6:7], -v[78:79]
	v_add_f64 v[68:69], v[88:89], v[68:69]
	v_mul_f64 v[88:89], v[10:11], s[10:11]
	v_fmac_f64_e32 v[72:73], s[30:31], v[30:31]
	v_add_f64 v[70:71], v[74:75], v[70:71]
	v_fma_f64 v[74:75], v[40:41], s[8:9], -v[82:83]
	v_add_f64 v[72:73], v[72:73], v[86:87]
	v_fmac_f64_e32 v[80:81], s[16:17], v[24:25]
	v_add_f64 v[70:71], v[74:75], v[70:71]
	v_fma_f64 v[74:75], v[20:21], s[12:13], -v[88:89]
	v_mul_f64 v[78:79], v[34:35], s[22:23]
	v_add_f64 v[72:73], v[80:81], v[72:73]
	v_fmac_f64_e32 v[84:85], s[20:21], v[16:17]
	v_add_f64 v[70:71], v[74:75], v[70:71]
	v_fma_f64 v[74:75], s[2:3], v[28:29], v[78:79]
	v_mul_f64 v[82:83], v[26:27], s[20:21]
	v_add_f64 v[72:73], v[84:85], v[72:73]
	v_add_f64 v[74:75], v[74:75], v[76:77]
	v_mul_f64 v[80:81], v[32:33], s[2:3]
	v_fma_f64 v[84:85], s[8:9], v[36:37], v[82:83]
	v_fma_f64 v[76:77], s[0:1], v[30:31], v[80:81]
	v_add_f64 v[74:75], v[84:85], v[74:75]
	v_mul_f64 v[84:85], v[38:39], s[8:9]
	v_add_f64 v[42:43], v[104:105], v[42:43]
	v_mul_f64 v[104:105], v[22:23], s[8:9]
	v_add_f64 v[76:77], v[76:77], v[92:93]
	v_fma_f64 v[86:87], s[18:19], v[24:25], v[84:85]
	v_add_f64 v[14:15], v[106:107], v[14:15]
	v_fma_f64 v[106:107], s[20:21], v[8:9], v[104:105]
	v_fmac_f64_e32 v[104:105], s[18:19], v[8:9]
	v_add_f64 v[76:77], v[86:87], v[76:77]
	v_mul_f64 v[86:87], v[18:19], s[26:27]
	v_add_f64 v[62:63], v[104:105], v[62:63]
	v_fma_f64 v[104:105], s[12:13], v[20:21], v[88:89]
	v_fma_f64 v[88:89], s[28:29], v[40:41], v[86:87]
	v_add_f64 v[74:75], v[88:89], v[74:75]
	v_mul_f64 v[88:89], v[46:47], s[28:29]
	v_fma_f64 v[78:79], v[28:29], s[2:3], -v[78:79]
	v_fma_f64 v[92:93], s[30:31], v[16:17], v[88:89]
	v_add_f64 v[78:79], v[78:79], v[96:97]
	v_fma_f64 v[82:83], v[36:37], s[8:9], -v[82:83]
	v_add_f64 v[76:77], v[92:93], v[76:77]
	v_mul_f64 v[92:93], v[10:11], s[16:17]
	v_add_f64 v[78:79], v[82:83], v[78:79]
	v_fma_f64 v[82:83], v[40:41], s[28:29], -v[86:87]
	v_fmac_f64_e32 v[80:81], s[22:23], v[30:31]
	v_add_f64 v[78:79], v[82:83], v[78:79]
	v_fma_f64 v[82:83], v[20:21], s[6:7], -v[92:93]
	v_add_f64 v[80:81], v[80:81], v[90:91]
	v_fmac_f64_e32 v[84:85], s[20:21], v[24:25]
	v_add_f64 v[78:79], v[82:83], v[78:79]
	v_mul_f64 v[82:83], v[34:35], s[18:19]
	v_add_f64 v[80:81], v[84:85], v[80:81]
	v_fma_f64 v[34:35], s[8:9], v[28:29], v[82:83]
	v_mul_f64 v[84:85], v[32:33], s[8:9]
	v_mul_f64 v[26:27], v[26:27], s[10:11]
	v_add_f64 v[34:35], v[34:35], v[98:99]
	v_fma_f64 v[32:33], s[20:21], v[30:31], v[84:85]
	v_fma_f64 v[86:87], s[12:13], v[36:37], v[26:27]
	v_mul_f64 v[38:39], v[38:39], s[12:13]
	v_add_f64 v[66:67], v[104:105], v[66:67]
	v_mul_f64 v[104:105], v[22:23], s[12:13]
	v_add_f64 v[32:33], v[32:33], v[94:95]
	v_add_f64 v[34:35], v[86:87], v[34:35]
	v_fma_f64 v[86:87], s[24:25], v[24:25], v[38:39]
	v_mul_f64 v[18:19], v[18:19], s[16:17]
	v_add_f64 v[44:45], v[106:107], v[44:45]
	v_fma_f64 v[106:107], s[24:25], v[8:9], v[104:105]
	v_fmac_f64_e32 v[104:105], s[10:11], v[8:9]
	v_add_f64 v[32:33], v[86:87], v[32:33]
	v_fma_f64 v[86:87], s[6:7], v[40:41], v[18:19]
	v_mul_f64 v[46:47], v[46:47], s[6:7]
	v_fma_f64 v[28:29], v[28:29], s[8:9], -v[82:83]
	v_fmac_f64_e32 v[84:85], s[18:19], v[30:31]
	v_add_f64 v[72:73], v[104:105], v[72:73]
	v_fma_f64 v[104:105], s[6:7], v[20:21], v[92:93]
	v_add_f64 v[34:35], v[86:87], v[34:35]
	v_fma_f64 v[86:87], s[14:15], v[16:17], v[46:47]
	v_mul_f64 v[10:11], v[10:11], s[0:1]
	v_add_f64 v[28:29], v[28:29], v[100:101]
	v_add_f64 v[30:31], v[84:85], v[102:103]
	v_fma_f64 v[26:27], v[36:37], s[12:13], -v[26:27]
	v_fmac_f64_e32 v[38:39], s[10:11], v[24:25]
	v_add_f64 v[74:75], v[104:105], v[74:75]
	v_mul_f64 v[104:105], v[22:23], s[6:7]
	v_add_f64 v[86:87], v[86:87], v[32:33]
	v_fma_f64 v[32:33], s[2:3], v[20:21], v[10:11]
	v_mul_f64 v[22:23], v[22:23], s[2:3]
	v_add_f64 v[26:27], v[26:27], v[28:29]
	v_add_f64 v[24:25], v[38:39], v[30:31]
	v_fma_f64 v[18:19], v[40:41], s[6:7], -v[18:19]
	v_fmac_f64_e32 v[46:47], s[16:17], v[16:17]
	v_fmac_f64_e32 v[88:89], s[26:27], v[16:17]
	v_add_f64 v[32:33], v[32:33], v[34:35]
	v_fma_f64 v[34:35], s[22:23], v[8:9], v[22:23]
	v_add_f64 v[18:19], v[18:19], v[26:27]
	v_add_f64 v[16:17], v[46:47], v[24:25]
	v_fma_f64 v[10:11], v[20:21], s[2:3], -v[10:11]
	v_fmac_f64_e32 v[22:23], s[0:1], v[8:9]
	s_movk_i32 s0, 0xa0
	v_add_f64 v[68:69], v[106:107], v[68:69]
	v_fma_f64 v[106:107], s[14:15], v[8:9], v[104:105]
	v_add_f64 v[80:81], v[88:89], v[80:81]
	v_fmac_f64_e32 v[104:105], s[16:17], v[8:9]
	v_add_f64 v[8:9], v[10:11], v[18:19]
	v_add_f64 v[10:11], v[22:23], v[16:17]
	v_mad_u32_u24 v16, v53, s0, v51
	v_add_f64 v[76:77], v[106:107], v[76:77]
	v_add_f64 v[80:81], v[104:105], v[80:81]
	v_add_f64 v[34:35], v[34:35], v[86:87]
	s_waitcnt lgkmcnt(0)
	; wave barrier
	ds_write_b128 v16, v[4:7]
	ds_write_b128 v16, v[12:15] offset:16
	ds_write_b128 v16, v[42:45] offset:32
	;; [unrolled: 1-line block ×10, first 2 shown]
	v_lshl_add_u32 v69, v52, 4, v65
	v_lshl_add_u32 v67, v56, 4, v65
	s_waitcnt lgkmcnt(0)
	; wave barrier
	s_waitcnt lgkmcnt(0)
	ds_read_b128 v[28:31], v64
	ds_read_b128 v[40:43], v51 offset:176
	v_lshl_add_u32 v68, v58, 4, v65
	ds_read_b128 v[20:23], v69
	ds_read_b128 v[8:11], v68
	ds_read_b128 v[44:47], v51 offset:208
	ds_read_b128 v[24:27], v51 offset:240
	v_lshl_add_u32 v66, v54, 4, v65
	ds_read_b128 v[16:19], v67
	ds_read_b128 v[12:15], v66
	ds_read_b128 v[36:39], v51 offset:272
	ds_read_b128 v[32:35], v51 offset:304
	v_cmp_ne_u32_e64 s[0:1], 0, v53
	v_cmp_eq_u32_e64 s[2:3], 0, v53
	v_mov_b64_e32 v[62:63], 0
                                        ; implicit-def: $vgpr6_vgpr7
	s_and_saveexec_b64 s[6:7], s[2:3]
	s_cbranch_execz .LBB0_15
; %bb.14:
	ds_read_b128 v[0:3], v65 offset:160
	ds_read_b128 v[4:7], v65 offset:336
	v_mov_b64_e32 v[62:63], 10
.LBB0_15:
	s_or_b64 exec, exec, s[6:7]
	v_mov_b32_e32 v53, 0
	global_load_dwordx4 v[70:73], v50, s[4:5]
	v_lshl_add_u64 v[60:61], v[52:53], 4, s[4:5]
	v_mov_b32_e32 v59, v53
	v_mov_b32_e32 v57, v53
	;; [unrolled: 1-line block ×3, first 2 shown]
	global_load_dwordx4 v[74:77], v[60:61], off
	v_lshl_add_u64 v[58:59], v[58:59], 4, s[4:5]
	v_lshl_add_u64 v[56:57], v[56:57], 4, s[4:5]
	;; [unrolled: 1-line block ×3, first 2 shown]
	global_load_dwordx4 v[86:89], v[54:55], off
	global_load_dwordx4 v[78:81], v[58:59], off
	;; [unrolled: 1-line block ×3, first 2 shown]
	s_waitcnt lgkmcnt(0)
	; wave barrier
	s_waitcnt vmcnt(4) lgkmcnt(0)
	v_mul_f64 v[90:91], v[42:43], v[72:73]
	v_mul_f64 v[72:73], v[40:41], v[72:73]
	v_fmac_f64_e32 v[90:91], v[40:41], v[70:71]
	v_fma_f64 v[42:43], v[42:43], v[70:71], -v[72:73]
	v_add_f64 v[40:41], v[28:29], -v[90:91]
	s_waitcnt vmcnt(3)
	v_mul_f64 v[70:71], v[46:47], v[76:77]
	v_mul_f64 v[72:73], v[44:45], v[76:77]
	v_add_f64 v[42:43], v[30:31], -v[42:43]
	v_fmac_f64_e32 v[70:71], v[44:45], v[74:75]
	v_fma_f64 v[44:45], v[46:47], v[74:75], -v[72:73]
	s_waitcnt vmcnt(1)
	v_mul_f64 v[46:47], v[26:27], v[80:81]
	v_mul_f64 v[72:73], v[24:25], v[80:81]
	s_waitcnt vmcnt(0)
	v_mul_f64 v[74:75], v[38:39], v[84:85]
	v_mul_f64 v[76:77], v[36:37], v[84:85]
	;; [unrolled: 1-line block ×4, first 2 shown]
	v_fma_f64 v[28:29], v[28:29], 2.0, -v[40:41]
	v_fma_f64 v[30:31], v[30:31], 2.0, -v[42:43]
	ds_write_b128 v51, v[40:43] offset:176
	v_fmac_f64_e32 v[46:47], v[24:25], v[78:79]
	v_fma_f64 v[40:41], v[26:27], v[78:79], -v[72:73]
	v_fmac_f64_e32 v[74:75], v[36:37], v[82:83]
	v_fma_f64 v[36:37], v[38:39], v[82:83], -v[76:77]
	;; [unrolled: 2-line block ×3, first 2 shown]
	v_add_f64 v[24:25], v[20:21], -v[70:71]
	v_add_f64 v[26:27], v[22:23], -v[44:45]
	ds_write_b128 v51, v[28:31]
	v_fma_f64 v[20:21], v[20:21], 2.0, -v[24:25]
	v_fma_f64 v[22:23], v[22:23], 2.0, -v[26:27]
	v_add_f64 v[28:29], v[8:9], -v[46:47]
	v_add_f64 v[30:31], v[10:11], -v[40:41]
	;; [unrolled: 1-line block ×6, first 2 shown]
	ds_write_b128 v69, v[24:27] offset:176
	v_fma_f64 v[8:9], v[8:9], 2.0, -v[28:29]
	v_fma_f64 v[10:11], v[10:11], 2.0, -v[30:31]
	;; [unrolled: 1-line block ×6, first 2 shown]
	ds_write_b128 v69, v[20:23]
	ds_write_b128 v68, v[28:31] offset:176
	ds_write_b128 v68, v[8:11]
	ds_write_b128 v67, v[16:19]
	ds_write_b128 v67, v[32:35] offset:176
	ds_write_b128 v66, v[12:15]
	ds_write_b128 v66, v[36:39] offset:176
	s_and_saveexec_b64 s[6:7], s[2:3]
	s_cbranch_execz .LBB0_17
; %bb.16:
	v_lshlrev_b32_e32 v8, 4, v62
	global_load_dwordx4 v[8:11], v8, s[4:5]
	s_waitcnt vmcnt(0)
	v_mul_f64 v[12:13], v[4:5], v[10:11]
	v_mul_f64 v[10:11], v[6:7], v[10:11]
	v_fma_f64 v[6:7], v[6:7], v[8:9], -v[12:13]
	v_fmac_f64_e32 v[10:11], v[4:5], v[8:9]
	v_add_f64 v[6:7], v[2:3], -v[6:7]
	v_add_f64 v[4:5], v[0:1], -v[10:11]
	v_fma_f64 v[2:3], v[2:3], 2.0, -v[6:7]
	v_fma_f64 v[0:1], v[0:1], 2.0, -v[4:5]
	ds_write_b128 v65, v[0:3] offset:160
	ds_write_b128 v65, v[4:7] offset:336
.LBB0_17:
	s_or_b64 exec, exec, s[6:7]
	s_waitcnt lgkmcnt(0)
	; wave barrier
	s_waitcnt lgkmcnt(0)
	ds_read_b128 v[8:11], v64
	v_sub_u32_e32 v12, v65, v50
                                        ; implicit-def: $vgpr6_vgpr7
                                        ; implicit-def: $vgpr2_vgpr3
	s_and_saveexec_b64 s[6:7], s[0:1]
	s_xor_b64 s[6:7], exec, s[6:7]
	s_cbranch_execz .LBB0_19
; %bb.18:
	v_mov_b32_e32 v51, v53
	v_lshl_add_u64 v[0:1], s[4:5], 0, v[50:51]
	global_load_dwordx4 v[14:17], v[0:1], off offset:176
	ds_read_b128 v[0:3], v12 offset:352
	s_waitcnt lgkmcnt(0)
	v_add_f64 v[4:5], v[8:9], v[0:1]
	v_add_f64 v[0:1], v[8:9], -v[0:1]
	v_add_f64 v[6:7], v[10:11], v[2:3]
	v_add_f64 v[2:3], v[10:11], -v[2:3]
	v_mul_f64 v[8:9], v[0:1], 0.5
	v_mul_f64 v[6:7], v[6:7], 0.5
	;; [unrolled: 1-line block ×3, first 2 shown]
	s_waitcnt vmcnt(0)
	v_mul_f64 v[10:11], v[8:9], v[16:17]
	v_fma_f64 v[2:3], v[6:7], v[16:17], v[0:1]
	v_fma_f64 v[16:17], v[6:7], v[16:17], -v[0:1]
	v_fma_f64 v[0:1], 0.5, v[4:5], v[10:11]
	v_fma_f64 v[4:5], v[4:5], 0.5, -v[10:11]
	v_fma_f64 v[2:3], -v[14:15], v[8:9], v[2:3]
	v_fmac_f64_e32 v[0:1], v[6:7], v[14:15]
	v_fma_f64 v[4:5], -v[6:7], v[14:15], v[4:5]
	v_fma_f64 v[6:7], -v[14:15], v[8:9], v[16:17]
                                        ; implicit-def: $vgpr8_vgpr9
.LBB0_19:
	s_andn2_saveexec_b64 s[6:7], s[6:7]
	s_cbranch_execz .LBB0_21
; %bb.20:
	ds_read_b64 v[6:7], v65 offset:184
	v_mov_b64_e32 v[2:3], 0
	s_waitcnt lgkmcnt(1)
	v_add_f64 v[0:1], v[8:9], v[10:11]
	v_add_f64 v[4:5], v[8:9], -v[10:11]
	s_waitcnt lgkmcnt(0)
	v_xor_b32_e32 v7, 0x80000000, v7
	ds_write_b64 v65, v[6:7] offset:184
	v_mov_b64_e32 v[6:7], v[2:3]
.LBB0_21:
	s_or_b64 exec, exec, s[6:7]
	s_waitcnt lgkmcnt(0)
	global_load_dwordx4 v[8:11], v[60:61], off offset:176
	global_load_dwordx4 v[14:17], v[58:59], off offset:176
	;; [unrolled: 1-line block ×3, first 2 shown]
	ds_write_b128 v64, v[0:3]
	ds_write_b128 v12, v[4:7] offset:352
	ds_read_b128 v[0:3], v69
	ds_read_b128 v[4:7], v12 offset:320
	global_load_dwordx4 v[22:25], v[54:55], off offset:176
	s_waitcnt lgkmcnt(0)
	v_add_f64 v[26:27], v[0:1], v[4:5]
	v_add_f64 v[0:1], v[0:1], -v[4:5]
	v_add_f64 v[28:29], v[2:3], v[6:7]
	v_add_f64 v[2:3], v[2:3], -v[6:7]
	v_mul_f64 v[6:7], v[0:1], 0.5
	v_mul_f64 v[4:5], v[28:29], 0.5
	v_mul_f64 v[0:1], v[2:3], 0.5
	s_waitcnt vmcnt(3)
	v_mul_f64 v[28:29], v[6:7], v[10:11]
	v_fma_f64 v[2:3], v[4:5], v[10:11], v[0:1]
	v_fma_f64 v[10:11], v[4:5], v[10:11], -v[0:1]
	v_fma_f64 v[0:1], 0.5, v[26:27], v[28:29]
	v_fma_f64 v[2:3], -v[8:9], v[6:7], v[2:3]
	v_fma_f64 v[26:27], v[26:27], 0.5, -v[28:29]
	v_fmac_f64_e32 v[0:1], v[4:5], v[8:9]
	v_fma_f64 v[6:7], -v[8:9], v[6:7], v[10:11]
	v_fma_f64 v[4:5], -v[4:5], v[8:9], v[26:27]
	ds_write_b128 v69, v[0:3]
	ds_write_b128 v12, v[4:7] offset:320
	ds_read_b128 v[0:3], v68
	ds_read_b128 v[4:7], v12 offset:288
	s_waitcnt lgkmcnt(0)
	v_add_f64 v[8:9], v[0:1], v[4:5]
	v_add_f64 v[0:1], v[0:1], -v[4:5]
	v_add_f64 v[10:11], v[2:3], v[6:7]
	v_add_f64 v[2:3], v[2:3], -v[6:7]
	v_mul_f64 v[6:7], v[0:1], 0.5
	v_mul_f64 v[4:5], v[10:11], 0.5
	v_mul_f64 v[0:1], v[2:3], 0.5
	s_waitcnt vmcnt(2)
	v_mul_f64 v[10:11], v[6:7], v[16:17]
	v_fma_f64 v[2:3], v[4:5], v[16:17], v[0:1]
	v_fma_f64 v[16:17], v[4:5], v[16:17], -v[0:1]
	v_fma_f64 v[0:1], 0.5, v[8:9], v[10:11]
	v_fma_f64 v[2:3], -v[14:15], v[6:7], v[2:3]
	v_fma_f64 v[8:9], v[8:9], 0.5, -v[10:11]
	v_fmac_f64_e32 v[0:1], v[4:5], v[14:15]
	v_fma_f64 v[6:7], -v[14:15], v[6:7], v[16:17]
	v_fma_f64 v[4:5], -v[4:5], v[14:15], v[8:9]
	ds_write_b128 v68, v[0:3]
	ds_write_b128 v12, v[4:7] offset:288
	ds_read_b128 v[0:3], v67
	ds_read_b128 v[4:7], v12 offset:256
	;; [unrolled: 22-line block ×3, first 2 shown]
	s_waitcnt lgkmcnt(0)
	v_add_f64 v[8:9], v[0:1], v[4:5]
	v_add_f64 v[0:1], v[0:1], -v[4:5]
	v_add_f64 v[10:11], v[2:3], v[6:7]
	v_add_f64 v[2:3], v[2:3], -v[6:7]
	v_mul_f64 v[6:7], v[0:1], 0.5
	v_mul_f64 v[4:5], v[10:11], 0.5
	;; [unrolled: 1-line block ×3, first 2 shown]
	s_waitcnt vmcnt(0)
	v_mul_f64 v[10:11], v[6:7], v[24:25]
	v_fma_f64 v[2:3], v[4:5], v[24:25], v[0:1]
	v_fma_f64 v[14:15], v[4:5], v[24:25], -v[0:1]
	v_fma_f64 v[0:1], 0.5, v[8:9], v[10:11]
	v_fma_f64 v[2:3], -v[22:23], v[6:7], v[2:3]
	v_fma_f64 v[8:9], v[8:9], 0.5, -v[10:11]
	v_fmac_f64_e32 v[0:1], v[4:5], v[22:23]
	v_fma_f64 v[6:7], -v[22:23], v[6:7], v[14:15]
	v_fma_f64 v[4:5], -v[4:5], v[22:23], v[8:9]
	ds_write_b128 v66, v[0:3]
	ds_write_b128 v12, v[4:7] offset:224
	s_and_saveexec_b64 s[6:7], s[2:3]
	s_cbranch_execz .LBB0_23
; %bb.22:
	ds_read_b128 v[0:3], v65 offset:160
	ds_read_b128 v[4:7], v65 offset:192
	s_load_dwordx4 s[8:11], s[4:5], 0x150
	s_waitcnt lgkmcnt(0)
	v_add_f64 v[8:9], v[0:1], v[4:5]
	v_add_f64 v[0:1], v[0:1], -v[4:5]
	v_add_f64 v[10:11], v[2:3], v[6:7]
	v_add_f64 v[2:3], v[2:3], -v[6:7]
	v_mul_f64 v[6:7], v[0:1], 0.5
	v_mul_f64 v[4:5], v[10:11], 0.5
	;; [unrolled: 1-line block ×3, first 2 shown]
	v_mul_f64 v[12:13], v[6:7], s[10:11]
	v_fma_f64 v[0:1], 0.5, v[8:9], v[12:13]
	v_fma_f64 v[2:3], s[10:11], v[4:5], v[10:11]
	v_fmac_f64_e32 v[0:1], s[8:9], v[4:5]
	v_fma_f64 v[2:3], -s[8:9], v[6:7], v[2:3]
	ds_write_b128 v65, v[0:3] offset:160
	v_fma_f64 v[0:1], v[8:9], 0.5, -v[12:13]
	v_fma_f64 v[2:3], v[4:5], s[10:11], -v[10:11]
	v_fma_f64 v[0:1], -v[4:5], s[8:9], v[0:1]
	v_fma_f64 v[2:3], -s[8:9], v[6:7], v[2:3]
	ds_write_b128 v65, v[0:3] offset:192
.LBB0_23:
	s_or_b64 exec, exec, s[6:7]
	s_waitcnt lgkmcnt(0)
	; wave barrier
	s_waitcnt lgkmcnt(0)
	s_and_saveexec_b64 s[2:3], vcc
	s_cbranch_execz .LBB0_26
; %bb.24:
	ds_read_b128 v[0:3], v64
	ds_read_b128 v[4:7], v64 offset:32
	v_mov_b32_e32 v51, 0
	v_lshl_add_u64 v[20:21], v[48:49], 0, v[50:51]
	s_waitcnt lgkmcnt(1)
	global_store_dwordx4 v[20:21], v[0:3], off
	ds_read_b128 v[0:3], v64 offset:64
	ds_read_b128 v[8:11], v64 offset:96
	;; [unrolled: 1-line block ×4, first 2 shown]
	s_waitcnt lgkmcnt(4)
	global_store_dwordx4 v[20:21], v[4:7], off offset:32
	s_waitcnt lgkmcnt(3)
	global_store_dwordx4 v[20:21], v[0:3], off offset:64
	;; [unrolled: 2-line block ×5, first 2 shown]
	ds_read_b128 v[0:3], v64 offset:192
	ds_read_b128 v[4:7], v64 offset:224
	;; [unrolled: 1-line block ×5, first 2 shown]
	s_waitcnt lgkmcnt(4)
	global_store_dwordx4 v[20:21], v[0:3], off offset:192
	s_waitcnt lgkmcnt(3)
	global_store_dwordx4 v[20:21], v[4:7], off offset:224
	;; [unrolled: 2-line block ×5, first 2 shown]
	s_and_b64 exec, exec, s[0:1]
	s_cbranch_execz .LBB0_26
; %bb.25:
	ds_read_b128 v[0:3], v64 offset:336
	s_waitcnt lgkmcnt(0)
	global_store_dwordx4 v[48:49], v[0:3], off offset:352
.LBB0_26:
	s_endpgm
	.section	.rodata,"a",@progbits
	.p2align	6, 0x0
	.amdhsa_kernel fft_rtc_back_len22_factors_11_2_wgs_64_tpt_2_halfLds_dp_ip_CI_unitstride_sbrr_R2C_dirReg
		.amdhsa_group_segment_fixed_size 0
		.amdhsa_private_segment_fixed_size 0
		.amdhsa_kernarg_size 88
		.amdhsa_user_sgpr_count 2
		.amdhsa_user_sgpr_dispatch_ptr 0
		.amdhsa_user_sgpr_queue_ptr 0
		.amdhsa_user_sgpr_kernarg_segment_ptr 1
		.amdhsa_user_sgpr_dispatch_id 0
		.amdhsa_user_sgpr_kernarg_preload_length 0
		.amdhsa_user_sgpr_kernarg_preload_offset 0
		.amdhsa_user_sgpr_private_segment_size 0
		.amdhsa_uses_dynamic_stack 0
		.amdhsa_enable_private_segment 0
		.amdhsa_system_sgpr_workgroup_id_x 1
		.amdhsa_system_sgpr_workgroup_id_y 0
		.amdhsa_system_sgpr_workgroup_id_z 0
		.amdhsa_system_sgpr_workgroup_info 0
		.amdhsa_system_vgpr_workitem_id 0
		.amdhsa_next_free_vgpr 108
		.amdhsa_next_free_sgpr 32
		.amdhsa_accum_offset 108
		.amdhsa_reserve_vcc 1
		.amdhsa_float_round_mode_32 0
		.amdhsa_float_round_mode_16_64 0
		.amdhsa_float_denorm_mode_32 3
		.amdhsa_float_denorm_mode_16_64 3
		.amdhsa_dx10_clamp 1
		.amdhsa_ieee_mode 1
		.amdhsa_fp16_overflow 0
		.amdhsa_tg_split 0
		.amdhsa_exception_fp_ieee_invalid_op 0
		.amdhsa_exception_fp_denorm_src 0
		.amdhsa_exception_fp_ieee_div_zero 0
		.amdhsa_exception_fp_ieee_overflow 0
		.amdhsa_exception_fp_ieee_underflow 0
		.amdhsa_exception_fp_ieee_inexact 0
		.amdhsa_exception_int_div_zero 0
	.end_amdhsa_kernel
	.text
.Lfunc_end0:
	.size	fft_rtc_back_len22_factors_11_2_wgs_64_tpt_2_halfLds_dp_ip_CI_unitstride_sbrr_R2C_dirReg, .Lfunc_end0-fft_rtc_back_len22_factors_11_2_wgs_64_tpt_2_halfLds_dp_ip_CI_unitstride_sbrr_R2C_dirReg
                                        ; -- End function
	.section	.AMDGPU.csdata,"",@progbits
; Kernel info:
; codeLenInByte = 6368
; NumSgprs: 38
; NumVgprs: 108
; NumAgprs: 0
; TotalNumVgprs: 108
; ScratchSize: 0
; MemoryBound: 0
; FloatMode: 240
; IeeeMode: 1
; LDSByteSize: 0 bytes/workgroup (compile time only)
; SGPRBlocks: 4
; VGPRBlocks: 13
; NumSGPRsForWavesPerEU: 38
; NumVGPRsForWavesPerEU: 108
; AccumOffset: 108
; Occupancy: 4
; WaveLimiterHint : 1
; COMPUTE_PGM_RSRC2:SCRATCH_EN: 0
; COMPUTE_PGM_RSRC2:USER_SGPR: 2
; COMPUTE_PGM_RSRC2:TRAP_HANDLER: 0
; COMPUTE_PGM_RSRC2:TGID_X_EN: 1
; COMPUTE_PGM_RSRC2:TGID_Y_EN: 0
; COMPUTE_PGM_RSRC2:TGID_Z_EN: 0
; COMPUTE_PGM_RSRC2:TIDIG_COMP_CNT: 0
; COMPUTE_PGM_RSRC3_GFX90A:ACCUM_OFFSET: 26
; COMPUTE_PGM_RSRC3_GFX90A:TG_SPLIT: 0
	.text
	.p2alignl 6, 3212836864
	.fill 256, 4, 3212836864
	.type	__hip_cuid_c4680343130d9a66,@object ; @__hip_cuid_c4680343130d9a66
	.section	.bss,"aw",@nobits
	.globl	__hip_cuid_c4680343130d9a66
__hip_cuid_c4680343130d9a66:
	.byte	0                               ; 0x0
	.size	__hip_cuid_c4680343130d9a66, 1

	.ident	"AMD clang version 19.0.0git (https://github.com/RadeonOpenCompute/llvm-project roc-6.4.0 25133 c7fe45cf4b819c5991fe208aaa96edf142730f1d)"
	.section	".note.GNU-stack","",@progbits
	.addrsig
	.addrsig_sym __hip_cuid_c4680343130d9a66
	.amdgpu_metadata
---
amdhsa.kernels:
  - .agpr_count:     0
    .args:
      - .actual_access:  read_only
        .address_space:  global
        .offset:         0
        .size:           8
        .value_kind:     global_buffer
      - .offset:         8
        .size:           8
        .value_kind:     by_value
      - .actual_access:  read_only
        .address_space:  global
        .offset:         16
        .size:           8
        .value_kind:     global_buffer
      - .actual_access:  read_only
        .address_space:  global
        .offset:         24
        .size:           8
        .value_kind:     global_buffer
      - .offset:         32
        .size:           8
        .value_kind:     by_value
      - .actual_access:  read_only
        .address_space:  global
        .offset:         40
        .size:           8
        .value_kind:     global_buffer
      - .actual_access:  read_only
        .address_space:  global
        .offset:         48
        .size:           8
        .value_kind:     global_buffer
      - .offset:         56
        .size:           4
        .value_kind:     by_value
      - .actual_access:  read_only
        .address_space:  global
        .offset:         64
        .size:           8
        .value_kind:     global_buffer
      - .actual_access:  read_only
        .address_space:  global
        .offset:         72
        .size:           8
        .value_kind:     global_buffer
      - .address_space:  global
        .offset:         80
        .size:           8
        .value_kind:     global_buffer
    .group_segment_fixed_size: 0
    .kernarg_segment_align: 8
    .kernarg_segment_size: 88
    .language:       OpenCL C
    .language_version:
      - 2
      - 0
    .max_flat_workgroup_size: 64
    .name:           fft_rtc_back_len22_factors_11_2_wgs_64_tpt_2_halfLds_dp_ip_CI_unitstride_sbrr_R2C_dirReg
    .private_segment_fixed_size: 0
    .sgpr_count:     38
    .sgpr_spill_count: 0
    .symbol:         fft_rtc_back_len22_factors_11_2_wgs_64_tpt_2_halfLds_dp_ip_CI_unitstride_sbrr_R2C_dirReg.kd
    .uniform_work_group_size: 1
    .uses_dynamic_stack: false
    .vgpr_count:     108
    .vgpr_spill_count: 0
    .wavefront_size: 64
amdhsa.target:   amdgcn-amd-amdhsa--gfx950
amdhsa.version:
  - 1
  - 2
...

	.end_amdgpu_metadata
